;; amdgpu-corpus repo=zjin-lcf/HeCBench kind=compiled arch=gfx906 opt=O3
	.amdgcn_target "amdgcn-amd-amdhsa--gfx906"
	.amdhsa_code_object_version 6
	.section	.text._Z16KernelPool2DGradI11AvgPoolGradIfEfLi11ELi11ELi4ELi4ELi1ELi1ELb1EEviPKT0_S4_S4_iiiiiT_PS2_b,"axG",@progbits,_Z16KernelPool2DGradI11AvgPoolGradIfEfLi11ELi11ELi4ELi4ELi1ELi1ELb1EEviPKT0_S4_S4_iiiiiT_PS2_b,comdat
	.protected	_Z16KernelPool2DGradI11AvgPoolGradIfEfLi11ELi11ELi4ELi4ELi1ELi1ELb1EEviPKT0_S4_S4_iiiiiT_PS2_b ; -- Begin function _Z16KernelPool2DGradI11AvgPoolGradIfEfLi11ELi11ELi4ELi4ELi1ELi1ELb1EEviPKT0_S4_S4_iiiiiT_PS2_b
	.globl	_Z16KernelPool2DGradI11AvgPoolGradIfEfLi11ELi11ELi4ELi4ELi1ELi1ELb1EEviPKT0_S4_S4_iiiiiT_PS2_b
	.p2align	8
	.type	_Z16KernelPool2DGradI11AvgPoolGradIfEfLi11ELi11ELi4ELi4ELi1ELi1ELb1EEviPKT0_S4_S4_iiiiiT_PS2_b,@function
_Z16KernelPool2DGradI11AvgPoolGradIfEfLi11ELi11ELi4ELi4ELi1ELi1ELb1EEviPKT0_S4_S4_iiiiiT_PS2_b: ; @_Z16KernelPool2DGradI11AvgPoolGradIfEfLi11ELi11ELi4ELi4ELi1ELi1ELb1EEviPKT0_S4_S4_iiiiiT_PS2_b
; %bb.0:
	s_load_dword s2, s[4:5], 0x54
	s_load_dword s24, s[4:5], 0x0
	s_add_u32 s0, s4, 0x48
	s_addc_u32 s1, s5, 0
	s_waitcnt lgkmcnt(0)
	s_and_b32 s2, s2, 0xffff
	s_mul_i32 s6, s6, s2
	v_add_u32_e32 v0, s6, v0
	v_cmp_gt_i32_e32 vcc, s24, v0
	s_and_saveexec_b64 s[6:7], vcc
	s_cbranch_execz .LBB0_20
; %bb.1:
	s_load_dword s3, s[4:5], 0x40
	s_load_dwordx4 s[8:11], s[4:5], 0x20
	s_load_dword s25, s[4:5], 0x30
	s_load_dword s28, s[0:1], 0x0
	s_load_dwordx2 s[12:13], s[4:5], 0x38
	s_load_dwordx2 s[14:15], s[4:5], 0x18
	s_waitcnt lgkmcnt(0)
	s_bitcmp1_b32 s3, 0
	s_cselect_b64 s[6:7], -1, 0
	s_abs_i32 s26, s10
	v_cvt_f32_u32_e32 v1, s26
	s_abs_i32 s29, s9
	s_abs_i32 s30, s8
	v_cvt_f32_u32_e32 v2, s29
	v_rcp_iflag_f32_e32 v1, v1
	v_cvt_f32_u32_e32 v3, s30
	s_sub_i32 s0, 0, s26
	v_rcp_iflag_f32_e32 v2, v2
	v_mul_f32_e32 v1, 0x4f7ffffe, v1
	v_rcp_iflag_f32_e32 v3, v3
	v_cvt_u32_f32_e32 v1, v1
	v_mul_f32_e32 v2, 0x4f7ffffe, v2
	v_cvt_u32_f32_e32 v2, v2
	v_mul_f32_e32 v3, 0x4f7ffffe, v3
	v_mul_lo_u32 v4, s0, v1
	v_cvt_u32_f32_e32 v3, v3
	s_sub_i32 s0, 0, s29
	v_mul_lo_u32 v5, s0, v2
	s_sub_i32 s0, 0, s30
	v_mul_hi_u32 v4, v1, v4
	v_mul_lo_u32 v7, s0, v3
	v_mul_hi_u32 v5, v2, v5
	s_xor_b64 s[0:1], s[6:7], -1
	v_add_u32_e32 v6, v1, v4
	v_mul_hi_u32 v1, v3, v7
	s_mul_i32 s27, s25, s11
	s_mul_i32 s28, s28, s2
	s_mul_i32 s31, s27, s8
	v_add_u32_e32 v8, v3, v1
	v_cndmask_b32_e64 v1, 0, 1, s[0:1]
	s_ashr_i32 s33, s10, 31
	s_ashr_i32 s34, s9, 31
	v_add_u32_e32 v7, v2, v5
	s_ashr_i32 s35, s8, 31
	s_mov_b64 s[4:5], 0
	v_cmp_ne_u32_e64 s[0:1], 1, v1
	s_branch .LBB0_4
.LBB0_2:                                ;   in Loop: Header=BB0_4 Depth=1
	s_or_b64 exec, exec, s[18:19]
.LBB0_3:                                ;   in Loop: Header=BB0_4 Depth=1
	s_or_b64 exec, exec, s[16:17]
	v_lshlrev_b64 v[1:2], 2, v[0:1]
	v_mov_b32_e32 v3, s13
	v_add_co_u32_e32 v1, vcc, s12, v1
	v_addc_co_u32_e32 v2, vcc, v3, v2, vcc
	v_add_u32_e32 v0, s28, v0
	v_cmp_le_i32_e32 vcc, s24, v0
	s_or_b64 s[4:5], vcc, s[4:5]
	global_store_dword v[1:2], v12, off
	s_andn2_b64 exec, exec, s[4:5]
	s_cbranch_execz .LBB0_20
.LBB0_4:                                ; =>This Loop Header: Depth=1
                                        ;     Child Loop BB0_14 Depth 2
                                        ;       Child Loop BB0_18 Depth 3
	v_sub_u32_e32 v2, 0, v0
	s_and_b64 vcc, exec, s[0:1]
	v_ashrrev_i32_e32 v1, 31, v0
	v_max_i32_e32 v2, v0, v2
	s_mov_b64 s[2:3], -1
                                        ; implicit-def: $vgpr12
                                        ; implicit-def: $vgpr5
                                        ; implicit-def: $vgpr9
                                        ; implicit-def: $vgpr10
                                        ; implicit-def: $vgpr11
                                        ; implicit-def: $vgpr4
                                        ; implicit-def: $vgpr3
	s_cbranch_vccnz .LBB0_6
; %bb.5:                                ;   in Loop: Header=BB0_4 Depth=1
	v_mul_hi_u32 v3, v2, v6
	v_ashrrev_i32_e32 v5, 31, v0
	v_xor_b32_e32 v10, s33, v5
	s_mov_b64 s[2:3], 0
	v_mul_lo_u32 v4, v3, s26
	v_add_u32_e32 v9, 1, v3
	v_sub_u32_e32 v4, v2, v4
	v_cmp_le_u32_e32 vcc, s26, v4
	v_cndmask_b32_e32 v3, v3, v9, vcc
	v_subrev_u32_e32 v9, s26, v4
	v_cndmask_b32_e32 v9, v4, v9, vcc
	v_add_u32_e32 v4, 1, v3
	v_cmp_le_u32_e32 vcc, s26, v9
	v_cndmask_b32_e32 v3, v3, v4, vcc
	v_xor_b32_e32 v3, v3, v10
	v_sub_u32_e32 v3, v3, v10
	v_sub_u32_e32 v4, 0, v3
	v_max_i32_e32 v4, v3, v4
	v_mul_hi_u32 v11, v4, v7
	v_ashrrev_i32_e32 v10, 31, v3
	v_xor_b32_e32 v3, s34, v10
	v_mul_lo_u32 v12, v11, s29
	v_add_u32_e32 v13, 1, v11
	v_sub_u32_e32 v4, v4, v12
	v_cmp_le_u32_e32 vcc, s29, v4
	v_cndmask_b32_e32 v12, v11, v13, vcc
	v_subrev_u32_e32 v11, s29, v4
	v_cndmask_b32_e32 v11, v4, v11, vcc
	v_add_u32_e32 v4, 1, v12
	v_cmp_le_u32_e32 vcc, s29, v11
	v_cndmask_b32_e32 v4, v12, v4, vcc
	v_xor_b32_e32 v4, v4, v3
	v_sub_u32_e32 v3, v4, v3
	v_sub_u32_e32 v4, 0, v3
	v_max_i32_e32 v12, v3, v4
	v_mul_hi_u32 v13, v12, v8
	v_ashrrev_i32_e32 v4, 31, v3
	v_xor_b32_e32 v15, s35, v4
	v_mul_lo_u32 v14, v13, s30
	v_add_u32_e32 v3, 1, v13
	v_sub_u32_e32 v12, v12, v14
	v_cmp_le_u32_e32 vcc, s30, v12
	v_cndmask_b32_e32 v13, v13, v3, vcc
	v_subrev_u32_e32 v3, s30, v12
	v_cndmask_b32_e32 v3, v12, v3, vcc
	v_add_u32_e32 v12, 1, v13
	v_cmp_le_u32_e32 vcc, s30, v3
	v_cndmask_b32_e32 v12, v13, v12, vcc
	v_xor_b32_e32 v12, v12, v15
	v_sub_u32_e32 v12, v12, v15
.LBB0_6:                                ;   in Loop: Header=BB0_4 Depth=1
	s_andn2_b64 vcc, exec, s[2:3]
	s_cbranch_vccnz .LBB0_8
; %bb.7:                                ;   in Loop: Header=BB0_4 Depth=1
	v_mul_hi_u32 v3, v2, v8
	v_xor_b32_e32 v5, s35, v1
	v_mul_lo_u32 v4, v3, s30
	v_add_u32_e32 v9, 1, v3
	v_sub_u32_e32 v2, v2, v4
	v_cmp_le_u32_e32 vcc, s30, v2
	v_cndmask_b32_e32 v4, v3, v9, vcc
	v_subrev_u32_e32 v3, s30, v2
	v_cndmask_b32_e32 v3, v2, v3, vcc
	v_add_u32_e32 v2, 1, v4
	v_cmp_le_u32_e32 vcc, s30, v3
	v_cndmask_b32_e32 v2, v4, v2, vcc
	v_xor_b32_e32 v2, v2, v5
	v_sub_u32_e32 v2, v2, v5
	v_sub_u32_e32 v4, 0, v2
	v_max_i32_e32 v4, v2, v4
	v_mul_hi_u32 v9, v4, v6
	v_ashrrev_i32_e32 v5, 31, v2
	v_xor_b32_e32 v2, s33, v5
	v_mul_lo_u32 v10, v9, s26
	v_add_u32_e32 v11, 1, v9
	v_sub_u32_e32 v4, v4, v10
	v_cmp_le_u32_e32 vcc, s26, v4
	v_cndmask_b32_e32 v10, v9, v11, vcc
	v_subrev_u32_e32 v9, s26, v4
	v_cndmask_b32_e32 v9, v4, v9, vcc
	v_add_u32_e32 v4, 1, v10
	v_cmp_le_u32_e32 vcc, s26, v9
	v_cndmask_b32_e32 v4, v10, v4, vcc
	v_xor_b32_e32 v4, v4, v2
	v_sub_u32_e32 v2, v4, v2
	v_sub_u32_e32 v4, 0, v2
	v_max_i32_e32 v4, v2, v4
	v_mul_hi_u32 v11, v4, v7
	v_ashrrev_i32_e32 v10, 31, v2
	v_xor_b32_e32 v2, s34, v10
	v_mul_lo_u32 v12, v11, s29
	v_add_u32_e32 v13, 1, v11
	v_sub_u32_e32 v4, v4, v12
	v_cmp_le_u32_e32 vcc, s29, v4
	v_cndmask_b32_e32 v12, v11, v13, vcc
	v_subrev_u32_e32 v11, s29, v4
	v_cndmask_b32_e32 v11, v4, v11, vcc
	v_add_u32_e32 v4, 1, v12
	v_cmp_le_u32_e32 vcc, s29, v11
	v_cndmask_b32_e32 v4, v12, v4, vcc
	v_xor_b32_e32 v4, v4, v2
	v_sub_u32_e32 v12, v4, v2
	v_mov_b32_e32 v4, v1
.LBB0_8:                                ;   in Loop: Header=BB0_4 Depth=1
	v_subrev_u32_e32 v2, s30, v3
	v_cmp_le_u32_e32 vcc, s30, v3
	v_cndmask_b32_e32 v2, v3, v2, vcc
	v_mul_lo_u32 v3, s31, v12
	v_xor_b32_e32 v2, v2, v4
	s_and_b64 vcc, exec, s[0:1]
	v_sub_u32_e32 v2, v2, v4
	s_cbranch_vccnz .LBB0_10
; %bb.9:                                ;   in Loop: Header=BB0_4 Depth=1
	v_mad_u64_u32 v[3:4], s[2:3], s27, v2, v[3:4]
.LBB0_10:                               ;   in Loop: Header=BB0_4 Depth=1
	v_subrev_u32_e32 v4, s29, v11
	v_cmp_le_u32_e32 vcc, s29, v11
	v_cndmask_b32_e32 v4, v11, v4, vcc
	v_xor_b32_e32 v4, v4, v10
	v_sub_u32_e32 v4, v4, v10
	v_add_u32_e32 v11, 1, v4
	v_add_u32_e32 v10, -10, v4
	v_cmp_lt_i32_e32 vcc, 9, v4
	v_ashrrev_i32_e32 v4, 31, v11
	v_lshrrev_b32_e32 v4, 30, v4
	v_add_u32_e32 v4, v11, v4
	v_lshrrev_b32_e32 v10, 2, v10
	v_ashrrev_i32_e32 v4, 2, v4
	v_add_u32_e32 v10, 1, v10
	v_add_u32_e32 v4, 1, v4
	v_cndmask_b32_e32 v10, 0, v10, vcc
	v_min_i32_e32 v11, s11, v4
	v_cmp_lt_i32_e32 vcc, v10, v11
	v_mov_b32_e32 v12, 0
	s_and_saveexec_b64 s[16:17], vcc
	s_cbranch_execz .LBB0_3
; %bb.11:                               ;   in Loop: Header=BB0_4 Depth=1
	v_ashrrev_i32_e32 v4, 31, v3
	v_lshlrev_b64 v[3:4], 2, v[3:4]
	v_mov_b32_e32 v12, s15
	v_add_co_u32_e32 v13, vcc, s14, v3
	v_addc_co_u32_e32 v14, vcc, v12, v4, vcc
	v_subrev_u32_e32 v3, s26, v9
	v_cmp_le_u32_e32 vcc, s26, v9
	v_cndmask_b32_e32 v3, v9, v3, vcc
	v_xor_b32_e32 v3, v3, v5
	v_sub_u32_e32 v3, v3, v5
	v_add_u32_e32 v4, 1, v3
	v_add_u32_e32 v5, -10, v3
	v_cmp_lt_i32_e32 vcc, 9, v3
	v_ashrrev_i32_e32 v3, 31, v4
	v_lshrrev_b32_e32 v3, 30, v3
	v_add_u32_e32 v3, v4, v3
	v_lshrrev_b32_e32 v5, 2, v5
	v_ashrrev_i32_e32 v3, 2, v3
	v_mul_lo_u32 v16, s25, v10
	v_add_u32_e32 v5, 1, v5
	v_add_u32_e32 v3, 1, v3
	v_cndmask_b32_e32 v9, 0, v5, vcc
	v_min_i32_e32 v15, s25, v3
	v_cmp_lt_i32_e64 s[2:3], v9, v15
	v_mov_b32_e32 v12, 0
	s_mov_b64 s[18:19], 0
	s_branch .LBB0_14
.LBB0_12:                               ;   in Loop: Header=BB0_14 Depth=2
	s_or_b64 exec, exec, s[22:23]
.LBB0_13:                               ;   in Loop: Header=BB0_14 Depth=2
	s_or_b64 exec, exec, s[20:21]
	v_add_u32_e32 v10, 1, v10
	v_cmp_ge_i32_e32 vcc, v10, v11
	s_or_b64 s[18:19], vcc, s[18:19]
	v_add_u32_e32 v16, s25, v16
	s_andn2_b64 exec, exec, s[18:19]
	s_cbranch_execz .LBB0_2
.LBB0_14:                               ;   Parent Loop BB0_4 Depth=1
                                        ; =>  This Loop Header: Depth=2
                                        ;       Child Loop BB0_18 Depth 3
	s_and_saveexec_b64 s[20:21], s[2:3]
	s_cbranch_execz .LBB0_13
; %bb.15:                               ;   in Loop: Header=BB0_14 Depth=2
	v_lshlrev_b32_e32 v3, 2, v10
	v_add_u32_e32 v4, 10, v3
	v_min_i32_e32 v4, s9, v4
	v_max_i32_e32 v3, 1, v3
	v_sub_u32_e32 v3, v4, v3
	v_add_u32_e32 v3, 1, v3
	s_mov_b64 s[22:23], 0
	v_lshlrev_b32_e32 v17, 2, v9
	v_mov_b32_e32 v18, v9
	s_branch .LBB0_18
.LBB0_16:                               ;   in Loop: Header=BB0_18 Depth=3
	v_mul_lo_u32 v4, v10, s25
	v_add_u32_e32 v4, v18, v4
	v_mad_u64_u32 v[4:5], s[36:37], v4, s8, v[2:3]
.LBB0_17:                               ;   in Loop: Header=BB0_18 Depth=3
	v_ashrrev_i32_e32 v5, 31, v4
	v_lshlrev_b64 v[4:5], 2, v[4:5]
	v_add_u32_e32 v18, 1, v18
	v_add_co_u32_e32 v4, vcc, v13, v4
	v_addc_co_u32_e32 v5, vcc, v14, v5, vcc
	global_load_dword v19, v[4:5], off
	v_add_u32_e32 v4, 10, v17
	v_max_i32_e32 v5, 1, v17
	v_min_i32_e32 v4, s10, v4
	v_sub_u32_e32 v4, v4, v5
	v_mad_u64_u32 v[4:5], s[36:37], v3, v4, v[3:4]
	v_add_u32_e32 v17, 4, v17
	v_cvt_f32_i32_e32 v4, v4
	v_div_scale_f32 v5, s[36:37], v4, v4, 1.0
	v_div_scale_f32 v20, vcc, 1.0, v4, 1.0
	v_rcp_f32_e32 v21, v5
	v_fma_f32 v22, -v5, v21, 1.0
	v_fmac_f32_e32 v21, v22, v21
	v_mul_f32_e32 v22, v20, v21
	v_fma_f32 v23, -v5, v22, v20
	v_fmac_f32_e32 v22, v23, v21
	v_fma_f32 v5, -v5, v22, v20
	v_div_fmas_f32 v5, v5, v21, v22
	v_cmp_ge_i32_e32 vcc, v18, v15
	s_or_b64 s[22:23], vcc, s[22:23]
	v_div_fixup_f32 v4, v5, v4, 1.0
	s_waitcnt vmcnt(0)
	v_fmac_f32_e32 v12, v4, v19
	s_andn2_b64 exec, exec, s[22:23]
	s_cbranch_execz .LBB0_12
.LBB0_18:                               ;   Parent Loop BB0_4 Depth=1
                                        ;     Parent Loop BB0_14 Depth=2
                                        ; =>    This Inner Loop Header: Depth=3
	s_andn2_b64 vcc, exec, s[6:7]
	s_cbranch_vccz .LBB0_16
; %bb.19:                               ;   in Loop: Header=BB0_18 Depth=3
	v_add_u32_e32 v4, v16, v18
	s_branch .LBB0_17
.LBB0_20:
	s_endpgm
	.section	.rodata,"a",@progbits
	.p2align	6, 0x0
	.amdhsa_kernel _Z16KernelPool2DGradI11AvgPoolGradIfEfLi11ELi11ELi4ELi4ELi1ELi1ELb1EEviPKT0_S4_S4_iiiiiT_PS2_b
		.amdhsa_group_segment_fixed_size 0
		.amdhsa_private_segment_fixed_size 0
		.amdhsa_kernarg_size 328
		.amdhsa_user_sgpr_count 6
		.amdhsa_user_sgpr_private_segment_buffer 1
		.amdhsa_user_sgpr_dispatch_ptr 0
		.amdhsa_user_sgpr_queue_ptr 0
		.amdhsa_user_sgpr_kernarg_segment_ptr 1
		.amdhsa_user_sgpr_dispatch_id 0
		.amdhsa_user_sgpr_flat_scratch_init 0
		.amdhsa_user_sgpr_private_segment_size 0
		.amdhsa_uses_dynamic_stack 0
		.amdhsa_system_sgpr_private_segment_wavefront_offset 0
		.amdhsa_system_sgpr_workgroup_id_x 1
		.amdhsa_system_sgpr_workgroup_id_y 0
		.amdhsa_system_sgpr_workgroup_id_z 0
		.amdhsa_system_sgpr_workgroup_info 0
		.amdhsa_system_vgpr_workitem_id 0
		.amdhsa_next_free_vgpr 24
		.amdhsa_next_free_sgpr 38
		.amdhsa_reserve_vcc 1
		.amdhsa_reserve_flat_scratch 0
		.amdhsa_float_round_mode_32 0
		.amdhsa_float_round_mode_16_64 0
		.amdhsa_float_denorm_mode_32 3
		.amdhsa_float_denorm_mode_16_64 3
		.amdhsa_dx10_clamp 1
		.amdhsa_ieee_mode 1
		.amdhsa_fp16_overflow 0
		.amdhsa_exception_fp_ieee_invalid_op 0
		.amdhsa_exception_fp_denorm_src 0
		.amdhsa_exception_fp_ieee_div_zero 0
		.amdhsa_exception_fp_ieee_overflow 0
		.amdhsa_exception_fp_ieee_underflow 0
		.amdhsa_exception_fp_ieee_inexact 0
		.amdhsa_exception_int_div_zero 0
	.end_amdhsa_kernel
	.section	.text._Z16KernelPool2DGradI11AvgPoolGradIfEfLi11ELi11ELi4ELi4ELi1ELi1ELb1EEviPKT0_S4_S4_iiiiiT_PS2_b,"axG",@progbits,_Z16KernelPool2DGradI11AvgPoolGradIfEfLi11ELi11ELi4ELi4ELi1ELi1ELb1EEviPKT0_S4_S4_iiiiiT_PS2_b,comdat
.Lfunc_end0:
	.size	_Z16KernelPool2DGradI11AvgPoolGradIfEfLi11ELi11ELi4ELi4ELi1ELi1ELb1EEviPKT0_S4_S4_iiiiiT_PS2_b, .Lfunc_end0-_Z16KernelPool2DGradI11AvgPoolGradIfEfLi11ELi11ELi4ELi4ELi1ELi1ELb1EEviPKT0_S4_S4_iiiiiT_PS2_b
                                        ; -- End function
	.set _Z16KernelPool2DGradI11AvgPoolGradIfEfLi11ELi11ELi4ELi4ELi1ELi1ELb1EEviPKT0_S4_S4_iiiiiT_PS2_b.num_vgpr, 24
	.set _Z16KernelPool2DGradI11AvgPoolGradIfEfLi11ELi11ELi4ELi4ELi1ELi1ELb1EEviPKT0_S4_S4_iiiiiT_PS2_b.num_agpr, 0
	.set _Z16KernelPool2DGradI11AvgPoolGradIfEfLi11ELi11ELi4ELi4ELi1ELi1ELb1EEviPKT0_S4_S4_iiiiiT_PS2_b.numbered_sgpr, 38
	.set _Z16KernelPool2DGradI11AvgPoolGradIfEfLi11ELi11ELi4ELi4ELi1ELi1ELb1EEviPKT0_S4_S4_iiiiiT_PS2_b.num_named_barrier, 0
	.set _Z16KernelPool2DGradI11AvgPoolGradIfEfLi11ELi11ELi4ELi4ELi1ELi1ELb1EEviPKT0_S4_S4_iiiiiT_PS2_b.private_seg_size, 0
	.set _Z16KernelPool2DGradI11AvgPoolGradIfEfLi11ELi11ELi4ELi4ELi1ELi1ELb1EEviPKT0_S4_S4_iiiiiT_PS2_b.uses_vcc, 1
	.set _Z16KernelPool2DGradI11AvgPoolGradIfEfLi11ELi11ELi4ELi4ELi1ELi1ELb1EEviPKT0_S4_S4_iiiiiT_PS2_b.uses_flat_scratch, 0
	.set _Z16KernelPool2DGradI11AvgPoolGradIfEfLi11ELi11ELi4ELi4ELi1ELi1ELb1EEviPKT0_S4_S4_iiiiiT_PS2_b.has_dyn_sized_stack, 0
	.set _Z16KernelPool2DGradI11AvgPoolGradIfEfLi11ELi11ELi4ELi4ELi1ELi1ELb1EEviPKT0_S4_S4_iiiiiT_PS2_b.has_recursion, 0
	.set _Z16KernelPool2DGradI11AvgPoolGradIfEfLi11ELi11ELi4ELi4ELi1ELi1ELb1EEviPKT0_S4_S4_iiiiiT_PS2_b.has_indirect_call, 0
	.section	.AMDGPU.csdata,"",@progbits
; Kernel info:
; codeLenInByte = 1376
; TotalNumSgprs: 42
; NumVgprs: 24
; ScratchSize: 0
; MemoryBound: 0
; FloatMode: 240
; IeeeMode: 1
; LDSByteSize: 0 bytes/workgroup (compile time only)
; SGPRBlocks: 5
; VGPRBlocks: 5
; NumSGPRsForWavesPerEU: 42
; NumVGPRsForWavesPerEU: 24
; Occupancy: 10
; WaveLimiterHint : 0
; COMPUTE_PGM_RSRC2:SCRATCH_EN: 0
; COMPUTE_PGM_RSRC2:USER_SGPR: 6
; COMPUTE_PGM_RSRC2:TRAP_HANDLER: 0
; COMPUTE_PGM_RSRC2:TGID_X_EN: 1
; COMPUTE_PGM_RSRC2:TGID_Y_EN: 0
; COMPUTE_PGM_RSRC2:TGID_Z_EN: 0
; COMPUTE_PGM_RSRC2:TIDIG_COMP_CNT: 0
	.section	.AMDGPU.gpr_maximums,"",@progbits
	.set amdgpu.max_num_vgpr, 0
	.set amdgpu.max_num_agpr, 0
	.set amdgpu.max_num_sgpr, 0
	.section	.AMDGPU.csdata,"",@progbits
	.type	__hip_cuid_b28d258d6ff0fbe5,@object ; @__hip_cuid_b28d258d6ff0fbe5
	.section	.bss,"aw",@nobits
	.globl	__hip_cuid_b28d258d6ff0fbe5
__hip_cuid_b28d258d6ff0fbe5:
	.byte	0                               ; 0x0
	.size	__hip_cuid_b28d258d6ff0fbe5, 1

	.ident	"AMD clang version 22.0.0git (https://github.com/RadeonOpenCompute/llvm-project roc-7.2.4 26084 f58b06dce1f9c15707c5f808fd002e18c2accf7e)"
	.section	".note.GNU-stack","",@progbits
	.addrsig
	.addrsig_sym __hip_cuid_b28d258d6ff0fbe5
	.amdgpu_metadata
---
amdhsa.kernels:
  - .args:
      - .offset:         0
        .size:           4
        .value_kind:     by_value
      - .actual_access:  read_only
        .address_space:  global
        .offset:         8
        .size:           8
        .value_kind:     global_buffer
      - .actual_access:  read_only
        .address_space:  global
        .offset:         16
        .size:           8
        .value_kind:     global_buffer
      - .actual_access:  read_only
        .address_space:  global
        .offset:         24
        .size:           8
        .value_kind:     global_buffer
      - .offset:         32
        .size:           4
        .value_kind:     by_value
      - .offset:         36
        .size:           4
        .value_kind:     by_value
      - .offset:         40
        .size:           4
        .value_kind:     by_value
      - .offset:         44
        .size:           4
        .value_kind:     by_value
      - .offset:         48
        .size:           4
        .value_kind:     by_value
      - .offset:         52
        .size:           1
        .value_kind:     by_value
      - .actual_access:  write_only
        .address_space:  global
        .offset:         56
        .size:           8
        .value_kind:     global_buffer
      - .offset:         64
        .size:           1
        .value_kind:     by_value
      - .offset:         72
        .size:           4
        .value_kind:     hidden_block_count_x
      - .offset:         76
        .size:           4
        .value_kind:     hidden_block_count_y
      - .offset:         80
        .size:           4
        .value_kind:     hidden_block_count_z
      - .offset:         84
        .size:           2
        .value_kind:     hidden_group_size_x
      - .offset:         86
        .size:           2
        .value_kind:     hidden_group_size_y
      - .offset:         88
        .size:           2
        .value_kind:     hidden_group_size_z
      - .offset:         90
        .size:           2
        .value_kind:     hidden_remainder_x
      - .offset:         92
        .size:           2
        .value_kind:     hidden_remainder_y
      - .offset:         94
        .size:           2
        .value_kind:     hidden_remainder_z
      - .offset:         112
        .size:           8
        .value_kind:     hidden_global_offset_x
      - .offset:         120
        .size:           8
        .value_kind:     hidden_global_offset_y
      - .offset:         128
        .size:           8
        .value_kind:     hidden_global_offset_z
      - .offset:         136
        .size:           2
        .value_kind:     hidden_grid_dims
    .group_segment_fixed_size: 0
    .kernarg_segment_align: 8
    .kernarg_segment_size: 328
    .language:       OpenCL C
    .language_version:
      - 2
      - 0
    .max_flat_workgroup_size: 1024
    .name:           _Z16KernelPool2DGradI11AvgPoolGradIfEfLi11ELi11ELi4ELi4ELi1ELi1ELb1EEviPKT0_S4_S4_iiiiiT_PS2_b
    .private_segment_fixed_size: 0
    .sgpr_count:     42
    .sgpr_spill_count: 0
    .symbol:         _Z16KernelPool2DGradI11AvgPoolGradIfEfLi11ELi11ELi4ELi4ELi1ELi1ELb1EEviPKT0_S4_S4_iiiiiT_PS2_b.kd
    .uniform_work_group_size: 1
    .uses_dynamic_stack: false
    .vgpr_count:     24
    .vgpr_spill_count: 0
    .wavefront_size: 64
amdhsa.target:   amdgcn-amd-amdhsa--gfx906
amdhsa.version:
  - 1
  - 2
...

	.end_amdgpu_metadata
